;; amdgpu-corpus repo=ROCm/rocFFT kind=compiled arch=gfx1030 opt=O3
	.text
	.amdgcn_target "amdgcn-amd-amdhsa--gfx1030"
	.amdhsa_code_object_version 6
	.protected	bluestein_single_fwd_len243_dim1_dp_op_CI_CI ; -- Begin function bluestein_single_fwd_len243_dim1_dp_op_CI_CI
	.globl	bluestein_single_fwd_len243_dim1_dp_op_CI_CI
	.p2align	8
	.type	bluestein_single_fwd_len243_dim1_dp_op_CI_CI,@function
bluestein_single_fwd_len243_dim1_dp_op_CI_CI: ; @bluestein_single_fwd_len243_dim1_dp_op_CI_CI
; %bb.0:
	s_load_dwordx4 s[16:19], s[4:5], 0x28
	v_mul_u32_u24_e32 v1, 0x32a, v0
	s_mov_b32 s0, exec_lo
	v_lshrrev_b32_e32 v1, 16, v1
	v_mad_u64_u32 v[44:45], null, s6, 3, v[1:2]
	v_mov_b32_e32 v45, 0
	s_waitcnt lgkmcnt(0)
	v_cmpx_gt_u64_e64 s[16:17], v[44:45]
	s_cbranch_execz .LBB0_2
; %bb.1:
	s_clause 0x1
	s_load_dwordx4 s[0:3], s[4:5], 0x18
	s_load_dwordx4 s[8:11], s[4:5], 0x0
	v_mul_lo_u16 v1, 0x51, v1
	v_mul_hi_u32 v38, 0xaaaaaaab, v44
	s_mov_b32 s7, 0xbfebb67a
	v_mov_b32_e32 v63, 5
	v_mov_b32_e32 v65, 27
	v_sub_nc_u16 v28, v0, v1
	v_lshrrev_b32_e32 v38, 1, v38
	v_and_b32_e32 v47, 0xffff, v28
	v_lshl_add_u32 v38, v38, 1, v38
	v_lshlrev_b32_e32 v37, 4, v47
	s_waitcnt lgkmcnt(0)
	s_load_dwordx4 s[12:15], s[0:1], 0x0
	v_sub_nc_u32_e32 v38, v44, v38
	v_add_co_u32 v49, s1, s8, v37
	v_add_co_ci_u32_e64 v50, null, s9, 0, s1
	s_waitcnt lgkmcnt(0)
	v_mad_u64_u32 v[0:1], null, s14, v44, 0
	v_mad_u64_u32 v[2:3], null, s12, v47, 0
	s_mul_i32 s0, s13, 0x510
	v_mad_u64_u32 v[4:5], null, s15, v44, v[1:2]
	v_mad_u64_u32 v[5:6], null, s13, v47, v[3:4]
	v_mov_b32_e32 v1, v4
	v_lshlrev_b64 v[0:1], 4, v[0:1]
	v_mov_b32_e32 v3, v5
	v_add_co_u32 v0, vcc_lo, s18, v0
	v_lshlrev_b64 v[2:3], 4, v[2:3]
	v_add_co_ci_u32_e32 v1, vcc_lo, s19, v1, vcc_lo
	v_add_co_u32 v0, vcc_lo, v0, v2
	v_add_co_ci_u32_e32 v1, vcc_lo, v1, v3, vcc_lo
	v_add_co_u32 v45, vcc_lo, 0x800, v49
	v_add_co_ci_u32_e32 v46, vcc_lo, 0, v50, vcc_lo
	v_mad_u64_u32 v[8:9], null, 0x510, s12, v[0:1]
	global_load_dwordx4 v[12:15], v[0:1], off
	v_add_nc_u32_e32 v9, s0, v9
	v_mad_u64_u32 v[20:21], null, 0x510, s12, v[8:9]
	v_add_nc_u32_e32 v21, s0, v21
	s_clause 0x1
	global_load_dwordx4 v[4:7], v37, s[8:9]
	global_load_dwordx4 v[0:3], v37, s[8:9] offset:1296
	global_load_dwordx4 v[16:19], v[8:9], off
	global_load_dwordx4 v[8:11], v[45:46], off offset:544
	global_load_dwordx4 v[20:23], v[20:21], off
	s_load_dwordx4 s[0:3], s[2:3], 0x0
	s_mov_b32 s8, 0xe8584caa
	s_mov_b32 s9, 0x3febb67a
	;; [unrolled: 1-line block ×3, first 2 shown]
	s_waitcnt vmcnt(4)
	v_mul_f64 v[24:25], v[14:15], v[6:7]
	v_mul_f64 v[26:27], v[12:13], v[6:7]
	s_waitcnt vmcnt(2)
	v_mul_f64 v[29:30], v[18:19], v[2:3]
	v_mul_f64 v[31:32], v[16:17], v[2:3]
	;; [unrolled: 3-line block ×3, first 2 shown]
	v_fma_f64 v[12:13], v[12:13], v[4:5], v[24:25]
	v_fma_f64 v[14:15], v[14:15], v[4:5], -v[26:27]
	v_fma_f64 v[16:17], v[16:17], v[0:1], v[29:30]
	v_fma_f64 v[18:19], v[18:19], v[0:1], -v[31:32]
	;; [unrolled: 2-line block ×3, first 2 shown]
	v_mul_u32_u24_e32 v24, 0xf3, v38
	v_and_b32_e32 v35, 0xff, v28
	v_lshlrev_b32_e32 v36, 4, v24
	v_add_nc_u32_e32 v48, v37, v36
	ds_write_b128 v48, v[12:15]
	ds_write_b128 v48, v[16:19] offset:1296
	ds_write_b128 v48, v[20:23] offset:2592
	s_waitcnt lgkmcnt(0)
	s_barrier
	buffer_gl0_inv
	ds_read_b128 v[12:15], v48 offset:2592
	ds_read_b128 v[16:19], v48 offset:1296
	ds_read_b128 v[20:23], v48
	s_waitcnt lgkmcnt(0)
	s_barrier
	buffer_gl0_inv
	v_add_f64 v[24:25], v[16:17], v[12:13]
	v_add_f64 v[26:27], v[18:19], v[14:15]
	;; [unrolled: 1-line block ×3, first 2 shown]
	v_add_f64 v[31:32], v[18:19], -v[14:15]
	v_add_f64 v[18:19], v[22:23], v[18:19]
	v_fma_f64 v[20:21], v[24:25], -0.5, v[20:21]
	v_add_f64 v[24:25], v[16:17], -v[12:13]
	v_fma_f64 v[22:23], v[26:27], -0.5, v[22:23]
	v_mul_lo_u16 v26, 0xab, v35
	v_add_f64 v[12:13], v[29:30], v[12:13]
	v_add_f64 v[14:15], v[18:19], v[14:15]
	v_lshrrev_b16 v43, 9, v26
	v_fma_f64 v[16:17], v[31:32], s[8:9], v[20:21]
	v_fma_f64 v[20:21], v[31:32], s[6:7], v[20:21]
	;; [unrolled: 1-line block ×4, first 2 shown]
	v_mul_lo_u16 v24, v28, 3
	v_mul_lo_u16 v25, v43, 3
	v_and_b32_e32 v24, 0xffff, v24
	v_sub_nc_u16 v54, v28, v25
	v_lshl_add_u32 v51, v24, 4, v36
	v_lshlrev_b32_sdwa v24, v63, v54 dst_sel:DWORD dst_unused:UNUSED_PAD src0_sel:DWORD src1_sel:BYTE_0
	ds_write_b128 v51, v[12:15]
	ds_write_b128 v51, v[16:19] offset:16
	ds_write_b128 v51, v[20:23] offset:32
	s_waitcnt lgkmcnt(0)
	s_barrier
	buffer_gl0_inv
	s_clause 0x1
	global_load_dwordx4 v[16:19], v24, s[10:11]
	global_load_dwordx4 v[12:15], v24, s[10:11] offset:16
	ds_read_b128 v[20:23], v48 offset:1296
	ds_read_b128 v[24:27], v48 offset:2592
	ds_read_b128 v[29:32], v48
	s_waitcnt vmcnt(0) lgkmcnt(0)
	s_barrier
	buffer_gl0_inv
	v_mul_f64 v[33:34], v[22:23], v[18:19]
	v_mul_f64 v[37:38], v[26:27], v[14:15]
	v_mul_f64 v[39:40], v[20:21], v[18:19]
	v_mul_f64 v[41:42], v[24:25], v[14:15]
	v_fma_f64 v[20:21], v[20:21], v[16:17], -v[33:34]
	v_fma_f64 v[24:25], v[24:25], v[12:13], -v[37:38]
	v_fma_f64 v[22:23], v[22:23], v[16:17], v[39:40]
	v_fma_f64 v[26:27], v[26:27], v[12:13], v[41:42]
	v_add_f64 v[39:40], v[29:30], v[20:21]
	v_add_f64 v[33:34], v[20:21], v[24:25]
	;; [unrolled: 1-line block ×4, first 2 shown]
	v_add_f64 v[52:53], v[22:23], -v[26:27]
	v_fma_f64 v[29:30], v[33:34], -0.5, v[29:30]
	v_add_f64 v[33:34], v[20:21], -v[24:25]
	v_fma_f64 v[31:32], v[37:38], -0.5, v[31:32]
	v_mul_lo_u16 v38, v35, 57
	v_add_f64 v[20:21], v[39:40], v[24:25]
	v_add_f64 v[22:23], v[41:42], v[26:27]
	v_mov_b32_e32 v37, 9
	v_mul_lo_u16 v35, v35, 19
	v_lshrrev_b16 v64, 9, v38
	v_fma_f64 v[24:25], v[52:53], s[8:9], v[29:30]
	v_fma_f64 v[29:30], v[52:53], s[6:7], v[29:30]
	;; [unrolled: 1-line block ×4, first 2 shown]
	v_mul_u32_u24_sdwa v33, v43, v37 dst_sel:DWORD dst_unused:UNUSED_PAD src0_sel:WORD_0 src1_sel:DWORD
	v_mul_lo_u16 v34, v64, 9
	v_add_nc_u32_sdwa v33, v33, v54 dst_sel:DWORD dst_unused:UNUSED_PAD src0_sel:DWORD src1_sel:BYTE_0
	v_sub_nc_u16 v43, v28, v34
	v_lshl_add_u32 v52, v33, 4, v36
	v_lshlrev_b32_sdwa v33, v63, v43 dst_sel:DWORD dst_unused:UNUSED_PAD src0_sel:DWORD src1_sel:BYTE_0
	ds_write_b128 v52, v[20:23]
	ds_write_b128 v52, v[24:27] offset:48
	ds_write_b128 v52, v[29:32] offset:96
	s_waitcnt lgkmcnt(0)
	s_barrier
	buffer_gl0_inv
	s_clause 0x1
	global_load_dwordx4 v[24:27], v33, s[10:11] offset:96
	global_load_dwordx4 v[20:23], v33, s[10:11] offset:112
	ds_read_b128 v[29:32], v48 offset:1296
	ds_read_b128 v[37:40], v48 offset:2592
	ds_read_b128 v[53:56], v48
	s_waitcnt vmcnt(0) lgkmcnt(0)
	s_barrier
	buffer_gl0_inv
	v_mul_f64 v[33:34], v[31:32], v[26:27]
	v_mul_f64 v[41:42], v[39:40], v[22:23]
	;; [unrolled: 1-line block ×4, first 2 shown]
	v_fma_f64 v[29:30], v[29:30], v[24:25], -v[33:34]
	v_fma_f64 v[33:34], v[37:38], v[20:21], -v[41:42]
	v_fma_f64 v[31:32], v[31:32], v[24:25], v[57:58]
	v_fma_f64 v[37:38], v[39:40], v[20:21], v[59:60]
	v_add_f64 v[59:60], v[53:54], v[29:30]
	v_add_f64 v[39:40], v[29:30], v[33:34]
	;; [unrolled: 1-line block ×4, first 2 shown]
	v_add_f64 v[61:62], v[31:32], -v[37:38]
	v_fma_f64 v[39:40], v[39:40], -0.5, v[53:54]
	v_add_f64 v[53:54], v[29:30], -v[33:34]
	v_fma_f64 v[41:42], v[41:42], -0.5, v[55:56]
	v_add_f64 v[31:32], v[57:58], v[37:38]
	v_add_f64 v[29:30], v[59:60], v[33:34]
	v_mul_u32_u24_sdwa v33, v64, v65 dst_sel:DWORD dst_unused:UNUSED_PAD src0_sel:WORD_0 src1_sel:DWORD
	v_add_nc_u32_sdwa v33, v33, v43 dst_sel:DWORD dst_unused:UNUSED_PAD src0_sel:DWORD src1_sel:BYTE_0
	v_fma_f64 v[37:38], v[61:62], s[8:9], v[39:40]
	v_fma_f64 v[55:56], v[61:62], s[6:7], v[39:40]
	;; [unrolled: 1-line block ×4, first 2 shown]
	v_lshrrev_b16 v53, 9, v35
	v_lshl_add_u32 v54, v33, 4, v36
	ds_write_b128 v54, v[29:32]
	ds_write_b128 v54, v[37:40] offset:144
	ds_write_b128 v54, v[55:58] offset:288
	v_mul_lo_u16 v34, v53, 27
	s_waitcnt lgkmcnt(0)
	s_barrier
	buffer_gl0_inv
	v_sub_nc_u16 v43, v28, v34
	v_lshlrev_b32_sdwa v33, v63, v43 dst_sel:DWORD dst_unused:UNUSED_PAD src0_sel:DWORD src1_sel:BYTE_0
	s_clause 0x1
	global_load_dwordx4 v[28:31], v33, s[10:11] offset:384
	global_load_dwordx4 v[32:35], v33, s[10:11] offset:400
	ds_read_b128 v[37:40], v48 offset:1296
	ds_read_b128 v[55:58], v48 offset:2592
	ds_read_b128 v[59:62], v48
	s_waitcnt vmcnt(0) lgkmcnt(0)
	s_barrier
	buffer_gl0_inv
	v_mul_f64 v[41:42], v[39:40], v[30:31]
	v_mul_f64 v[63:64], v[57:58], v[34:35]
	;; [unrolled: 1-line block ×4, first 2 shown]
	v_fma_f64 v[37:38], v[37:38], v[28:29], -v[41:42]
	v_fma_f64 v[41:42], v[55:56], v[32:33], -v[63:64]
	v_fma_f64 v[39:40], v[39:40], v[28:29], v[65:66]
	v_fma_f64 v[55:56], v[57:58], v[32:33], v[67:68]
	v_add_f64 v[67:68], v[59:60], v[37:38]
	v_add_f64 v[57:58], v[37:38], v[41:42]
	;; [unrolled: 1-line block ×4, first 2 shown]
	v_add_f64 v[69:70], v[39:40], -v[55:56]
	v_add_f64 v[71:72], v[37:38], -v[41:42]
	v_add_f64 v[37:38], v[67:68], v[41:42]
	v_fma_f64 v[57:58], v[57:58], -0.5, v[59:60]
	v_add_f64 v[39:40], v[65:66], v[55:56]
	v_fma_f64 v[61:62], v[63:64], -0.5, v[61:62]
	v_mov_b32_e32 v63, 0x51
	v_mul_u32_u24_sdwa v41, v53, v63 dst_sel:DWORD dst_unused:UNUSED_PAD src0_sel:WORD_0 src1_sel:DWORD
	v_add_nc_u32_sdwa v41, v41, v43 dst_sel:DWORD dst_unused:UNUSED_PAD src0_sel:DWORD src1_sel:BYTE_0
	v_lshl_add_u32 v53, v41, 4, v36
	v_lshlrev_b32_e32 v41, 5, v47
	v_fma_f64 v[55:56], v[69:70], s[8:9], v[57:58]
	v_fma_f64 v[59:60], v[69:70], s[6:7], v[57:58]
	;; [unrolled: 1-line block ×4, first 2 shown]
	ds_write_b128 v53, v[37:40]
	ds_write_b128 v53, v[55:58] offset:432
	ds_write_b128 v53, v[59:62] offset:864
	s_waitcnt lgkmcnt(0)
	s_barrier
	buffer_gl0_inv
	s_clause 0x1
	global_load_dwordx4 v[36:39], v41, s[10:11] offset:1248
	global_load_dwordx4 v[40:43], v41, s[10:11] offset:1264
	ds_read_b128 v[55:58], v48 offset:1296
	ds_read_b128 v[59:62], v48 offset:2592
	ds_read_b128 v[63:66], v48
	s_waitcnt vmcnt(1) lgkmcnt(2)
	v_mul_f64 v[67:68], v[57:58], v[38:39]
	s_waitcnt vmcnt(0) lgkmcnt(1)
	v_mul_f64 v[69:70], v[61:62], v[42:43]
	v_mul_f64 v[71:72], v[55:56], v[38:39]
	;; [unrolled: 1-line block ×3, first 2 shown]
	v_fma_f64 v[55:56], v[55:56], v[36:37], -v[67:68]
	v_fma_f64 v[59:60], v[59:60], v[40:41], -v[69:70]
	v_fma_f64 v[57:58], v[57:58], v[36:37], v[71:72]
	v_fma_f64 v[61:62], v[61:62], v[40:41], v[73:74]
	s_waitcnt lgkmcnt(0)
	v_add_f64 v[73:74], v[63:64], v[55:56]
	v_add_f64 v[67:68], v[55:56], v[59:60]
	;; [unrolled: 1-line block ×4, first 2 shown]
	v_add_f64 v[75:76], v[57:58], -v[61:62]
	v_fma_f64 v[63:64], v[67:68], -0.5, v[63:64]
	v_add_f64 v[67:68], v[55:56], -v[59:60]
	v_fma_f64 v[65:66], v[69:70], -0.5, v[65:66]
	v_add_f64 v[57:58], v[71:72], v[61:62]
	v_add_f64 v[55:56], v[73:74], v[59:60]
	v_fma_f64 v[59:60], v[75:76], s[8:9], v[63:64]
	v_fma_f64 v[63:64], v[75:76], s[6:7], v[63:64]
	;; [unrolled: 1-line block ×4, first 2 shown]
	ds_write_b128 v48, v[55:58]
	ds_write_b128 v48, v[59:62] offset:1296
	ds_write_b128 v48, v[63:66] offset:2592
	s_waitcnt lgkmcnt(0)
	s_barrier
	buffer_gl0_inv
	global_load_dwordx4 v[55:58], v[45:46], off offset:1840
	v_add_co_u32 v45, vcc_lo, 0xf30, v49
	v_add_co_ci_u32_e32 v46, vcc_lo, 0, v50, vcc_lo
	v_add_co_u32 v49, vcc_lo, 0x1800, v49
	v_add_co_ci_u32_e32 v50, vcc_lo, 0, v50, vcc_lo
	global_load_dwordx4 v[59:62], v[45:46], off offset:1296
	ds_read_b128 v[63:66], v48
	ds_read_b128 v[67:70], v48 offset:1296
	s_waitcnt vmcnt(1) lgkmcnt(1)
	v_mul_f64 v[45:46], v[65:66], v[57:58]
	v_mul_f64 v[57:58], v[63:64], v[57:58]
	v_fma_f64 v[63:64], v[63:64], v[55:56], -v[45:46]
	v_fma_f64 v[65:66], v[65:66], v[55:56], v[57:58]
	global_load_dwordx4 v[55:58], v[49:50], off offset:336
	s_waitcnt vmcnt(1) lgkmcnt(0)
	v_mul_f64 v[45:46], v[69:70], v[61:62]
	v_mul_f64 v[49:50], v[67:68], v[61:62]
	v_fma_f64 v[67:68], v[67:68], v[59:60], -v[45:46]
	v_fma_f64 v[69:70], v[69:70], v[59:60], v[49:50]
	ds_read_b128 v[59:62], v48 offset:2592
	s_waitcnt vmcnt(0) lgkmcnt(0)
	v_mul_f64 v[45:46], v[61:62], v[57:58]
	v_mul_f64 v[49:50], v[59:60], v[57:58]
	v_fma_f64 v[57:58], v[59:60], v[55:56], -v[45:46]
	v_fma_f64 v[59:60], v[61:62], v[55:56], v[49:50]
	ds_write_b128 v48, v[63:66]
	ds_write_b128 v48, v[67:70] offset:1296
	ds_write_b128 v48, v[57:60] offset:2592
	s_waitcnt lgkmcnt(0)
	s_barrier
	buffer_gl0_inv
	ds_read_b128 v[55:58], v48 offset:1296
	ds_read_b128 v[59:62], v48 offset:2592
	ds_read_b128 v[63:66], v48
	s_waitcnt lgkmcnt(0)
	s_barrier
	buffer_gl0_inv
	v_add_f64 v[45:46], v[55:56], v[59:60]
	v_add_f64 v[49:50], v[57:58], v[61:62]
	v_add_f64 v[67:68], v[63:64], v[55:56]
	v_add_f64 v[69:70], v[65:66], v[57:58]
	v_add_f64 v[71:72], v[57:58], -v[61:62]
	v_add_f64 v[73:74], v[55:56], -v[59:60]
	v_fma_f64 v[45:46], v[45:46], -0.5, v[63:64]
	v_fma_f64 v[49:50], v[49:50], -0.5, v[65:66]
	v_add_f64 v[55:56], v[67:68], v[59:60]
	v_add_f64 v[57:58], v[69:70], v[61:62]
	v_fma_f64 v[59:60], v[71:72], s[6:7], v[45:46]
	v_fma_f64 v[61:62], v[73:74], s[8:9], v[49:50]
	;; [unrolled: 1-line block ×4, first 2 shown]
	ds_write_b128 v51, v[55:58]
	ds_write_b128 v51, v[59:62] offset:16
	ds_write_b128 v51, v[63:66] offset:32
	s_waitcnt lgkmcnt(0)
	s_barrier
	buffer_gl0_inv
	ds_read_b128 v[55:58], v48 offset:1296
	ds_read_b128 v[59:62], v48 offset:2592
	ds_read_b128 v[63:66], v48
	s_waitcnt lgkmcnt(0)
	s_barrier
	buffer_gl0_inv
	v_mul_f64 v[45:46], v[18:19], v[57:58]
	v_mul_f64 v[49:50], v[14:15], v[61:62]
	;; [unrolled: 1-line block ×4, first 2 shown]
	v_fma_f64 v[45:46], v[16:17], v[55:56], v[45:46]
	v_fma_f64 v[49:50], v[12:13], v[59:60], v[49:50]
	v_fma_f64 v[16:17], v[16:17], v[57:58], -v[18:19]
	v_fma_f64 v[12:13], v[12:13], v[61:62], -v[14:15]
	v_add_f64 v[57:58], v[63:64], v[45:46]
	v_add_f64 v[14:15], v[45:46], v[49:50]
	;; [unrolled: 1-line block ×4, first 2 shown]
	v_add_f64 v[59:60], v[16:17], -v[12:13]
	v_add_f64 v[45:46], v[45:46], -v[49:50]
	v_fma_f64 v[61:62], v[14:15], -0.5, v[63:64]
	v_add_f64 v[14:15], v[55:56], v[12:13]
	v_fma_f64 v[63:64], v[18:19], -0.5, v[65:66]
	v_add_f64 v[12:13], v[57:58], v[49:50]
	v_fma_f64 v[16:17], v[59:60], s[6:7], v[61:62]
	v_fma_f64 v[55:56], v[59:60], s[8:9], v[61:62]
	;; [unrolled: 1-line block ×4, first 2 shown]
	ds_write_b128 v52, v[12:15]
	ds_write_b128 v52, v[16:19] offset:48
	ds_write_b128 v52, v[55:58] offset:96
	s_waitcnt lgkmcnt(0)
	s_barrier
	buffer_gl0_inv
	ds_read_b128 v[12:15], v48 offset:1296
	ds_read_b128 v[16:19], v48 offset:2592
	ds_read_b128 v[49:52], v48
	s_waitcnt lgkmcnt(0)
	s_barrier
	buffer_gl0_inv
	v_mul_f64 v[45:46], v[26:27], v[14:15]
	v_mul_f64 v[55:56], v[22:23], v[18:19]
	;; [unrolled: 1-line block ×4, first 2 shown]
	v_fma_f64 v[12:13], v[24:25], v[12:13], v[45:46]
	v_fma_f64 v[16:17], v[20:21], v[16:17], v[55:56]
	v_fma_f64 v[14:15], v[24:25], v[14:15], -v[26:27]
	v_fma_f64 v[18:19], v[20:21], v[18:19], -v[22:23]
	v_add_f64 v[24:25], v[49:50], v[12:13]
	v_add_f64 v[20:21], v[12:13], v[16:17]
	;; [unrolled: 1-line block ×4, first 2 shown]
	v_add_f64 v[45:46], v[14:15], -v[18:19]
	v_fma_f64 v[20:21], v[20:21], -0.5, v[49:50]
	v_add_f64 v[49:50], v[12:13], -v[16:17]
	v_fma_f64 v[22:23], v[22:23], -0.5, v[51:52]
	v_add_f64 v[12:13], v[24:25], v[16:17]
	v_add_f64 v[14:15], v[26:27], v[18:19]
	v_fma_f64 v[16:17], v[45:46], s[6:7], v[20:21]
	v_fma_f64 v[20:21], v[45:46], s[8:9], v[20:21]
	;; [unrolled: 1-line block ×4, first 2 shown]
	ds_write_b128 v54, v[12:15]
	ds_write_b128 v54, v[16:19] offset:144
	ds_write_b128 v54, v[20:23] offset:288
	s_waitcnt lgkmcnt(0)
	s_barrier
	buffer_gl0_inv
	ds_read_b128 v[12:15], v48 offset:1296
	ds_read_b128 v[16:19], v48 offset:2592
	ds_read_b128 v[20:23], v48
	s_waitcnt lgkmcnt(0)
	s_barrier
	buffer_gl0_inv
	v_mul_f64 v[24:25], v[30:31], v[14:15]
	v_mul_f64 v[26:27], v[34:35], v[18:19]
	;; [unrolled: 1-line block ×4, first 2 shown]
	v_fma_f64 v[12:13], v[28:29], v[12:13], v[24:25]
	v_fma_f64 v[16:17], v[32:33], v[16:17], v[26:27]
	v_fma_f64 v[14:15], v[28:29], v[14:15], -v[30:31]
	v_fma_f64 v[18:19], v[32:33], v[18:19], -v[34:35]
	v_add_f64 v[28:29], v[20:21], v[12:13]
	v_add_f64 v[24:25], v[12:13], v[16:17]
	;; [unrolled: 1-line block ×3, first 2 shown]
	v_add_f64 v[30:31], v[14:15], -v[18:19]
	v_add_f64 v[14:15], v[22:23], v[14:15]
	v_fma_f64 v[20:21], v[24:25], -0.5, v[20:21]
	v_add_f64 v[24:25], v[12:13], -v[16:17]
	v_fma_f64 v[22:23], v[26:27], -0.5, v[22:23]
	v_add_f64 v[12:13], v[28:29], v[16:17]
	v_add_f64 v[14:15], v[14:15], v[18:19]
	v_fma_f64 v[16:17], v[30:31], s[6:7], v[20:21]
	v_fma_f64 v[20:21], v[30:31], s[8:9], v[20:21]
	;; [unrolled: 1-line block ×4, first 2 shown]
	ds_write_b128 v53, v[12:15]
	ds_write_b128 v53, v[16:19] offset:432
	ds_write_b128 v53, v[20:23] offset:864
	s_waitcnt lgkmcnt(0)
	s_barrier
	buffer_gl0_inv
	ds_read_b128 v[12:15], v48 offset:1296
	ds_read_b128 v[16:19], v48 offset:2592
	ds_read_b128 v[20:23], v48
	s_waitcnt lgkmcnt(2)
	v_mul_f64 v[24:25], v[38:39], v[14:15]
	s_waitcnt lgkmcnt(1)
	v_mul_f64 v[26:27], v[42:43], v[18:19]
	v_mul_f64 v[28:29], v[38:39], v[12:13]
	;; [unrolled: 1-line block ×3, first 2 shown]
	v_fma_f64 v[12:13], v[36:37], v[12:13], v[24:25]
	v_fma_f64 v[16:17], v[40:41], v[16:17], v[26:27]
	v_fma_f64 v[14:15], v[36:37], v[14:15], -v[28:29]
	v_fma_f64 v[18:19], v[40:41], v[18:19], -v[30:31]
	s_waitcnt lgkmcnt(0)
	v_add_f64 v[28:29], v[20:21], v[12:13]
	v_add_f64 v[24:25], v[12:13], v[16:17]
	;; [unrolled: 1-line block ×3, first 2 shown]
	v_add_f64 v[30:31], v[14:15], -v[18:19]
	v_add_f64 v[14:15], v[22:23], v[14:15]
	v_fma_f64 v[20:21], v[24:25], -0.5, v[20:21]
	v_add_f64 v[24:25], v[12:13], -v[16:17]
	v_fma_f64 v[22:23], v[26:27], -0.5, v[22:23]
	v_add_f64 v[12:13], v[28:29], v[16:17]
	v_add_f64 v[14:15], v[14:15], v[18:19]
	v_mad_u64_u32 v[26:27], null, s0, v47, 0
	v_fma_f64 v[16:17], v[30:31], s[6:7], v[20:21]
	v_fma_f64 v[20:21], v[30:31], s[8:9], v[20:21]
	;; [unrolled: 1-line block ×4, first 2 shown]
	ds_write_b128 v48, v[12:15]
	ds_write_b128 v48, v[16:19] offset:1296
	ds_write_b128 v48, v[20:23] offset:2592
	s_waitcnt lgkmcnt(0)
	s_barrier
	buffer_gl0_inv
	ds_read_b128 v[12:15], v48
	ds_read_b128 v[16:19], v48 offset:1296
	ds_read_b128 v[20:23], v48 offset:2592
	v_mad_u64_u32 v[24:25], null, s2, v44, 0
	v_mad_u64_u32 v[34:35], null, s3, v44, v[25:26]
	s_load_dwordx2 s[2:3], s[4:5], 0x38
	v_mov_b32_e32 v25, v34
	s_waitcnt lgkmcnt(0)
	v_mul_f64 v[28:29], v[6:7], v[14:15]
	v_mul_f64 v[6:7], v[6:7], v[12:13]
	;; [unrolled: 1-line block ×6, first 2 shown]
	v_lshlrev_b64 v[24:25], 4, v[24:25]
	v_mad_u64_u32 v[35:36], null, s1, v47, v[27:28]
	v_fma_f64 v[12:13], v[4:5], v[12:13], v[28:29]
	v_fma_f64 v[4:5], v[4:5], v[14:15], -v[6:7]
	v_fma_f64 v[6:7], v[0:1], v[16:17], v[30:31]
	v_fma_f64 v[14:15], v[0:1], v[18:19], -v[2:3]
	;; [unrolled: 2-line block ×3, first 2 shown]
	v_mov_b32_e32 v27, v35
	v_add_co_u32 v2, vcc_lo, s2, v24
	v_add_co_ci_u32_e32 v3, vcc_lo, s3, v25, vcc_lo
	v_lshlrev_b64 v[0:1], 4, v[26:27]
	s_mov_b32 s2, 0xa88f4696
	s_mov_b32 s3, 0x3f70db20
	s_mulk_i32 s1, 0x510
	v_add_co_u32 v18, vcc_lo, v2, v0
	v_add_co_ci_u32_e32 v19, vcc_lo, v3, v1, vcc_lo
	v_mul_f64 v[0:1], v[12:13], s[2:3]
	v_mul_f64 v[2:3], v[4:5], s[2:3]
	v_mad_u64_u32 v[20:21], null, 0x510, s0, v[18:19]
	v_mul_f64 v[4:5], v[6:7], s[2:3]
	v_mul_f64 v[6:7], v[14:15], s[2:3]
	;; [unrolled: 1-line block ×4, first 2 shown]
	v_add_nc_u32_e32 v21, s1, v21
	v_mad_u64_u32 v[12:13], null, 0x510, s0, v[20:21]
	v_add_nc_u32_e32 v13, s1, v13
	global_store_dwordx4 v[18:19], v[0:3], off
	global_store_dwordx4 v[20:21], v[4:7], off
	;; [unrolled: 1-line block ×3, first 2 shown]
.LBB0_2:
	s_endpgm
	.section	.rodata,"a",@progbits
	.p2align	6, 0x0
	.amdhsa_kernel bluestein_single_fwd_len243_dim1_dp_op_CI_CI
		.amdhsa_group_segment_fixed_size 11664
		.amdhsa_private_segment_fixed_size 0
		.amdhsa_kernarg_size 104
		.amdhsa_user_sgpr_count 6
		.amdhsa_user_sgpr_private_segment_buffer 1
		.amdhsa_user_sgpr_dispatch_ptr 0
		.amdhsa_user_sgpr_queue_ptr 0
		.amdhsa_user_sgpr_kernarg_segment_ptr 1
		.amdhsa_user_sgpr_dispatch_id 0
		.amdhsa_user_sgpr_flat_scratch_init 0
		.amdhsa_user_sgpr_private_segment_size 0
		.amdhsa_wavefront_size32 1
		.amdhsa_uses_dynamic_stack 0
		.amdhsa_system_sgpr_private_segment_wavefront_offset 0
		.amdhsa_system_sgpr_workgroup_id_x 1
		.amdhsa_system_sgpr_workgroup_id_y 0
		.amdhsa_system_sgpr_workgroup_id_z 0
		.amdhsa_system_sgpr_workgroup_info 0
		.amdhsa_system_vgpr_workitem_id 0
		.amdhsa_next_free_vgpr 77
		.amdhsa_next_free_sgpr 20
		.amdhsa_reserve_vcc 1
		.amdhsa_reserve_flat_scratch 0
		.amdhsa_float_round_mode_32 0
		.amdhsa_float_round_mode_16_64 0
		.amdhsa_float_denorm_mode_32 3
		.amdhsa_float_denorm_mode_16_64 3
		.amdhsa_dx10_clamp 1
		.amdhsa_ieee_mode 1
		.amdhsa_fp16_overflow 0
		.amdhsa_workgroup_processor_mode 1
		.amdhsa_memory_ordered 1
		.amdhsa_forward_progress 0
		.amdhsa_shared_vgpr_count 0
		.amdhsa_exception_fp_ieee_invalid_op 0
		.amdhsa_exception_fp_denorm_src 0
		.amdhsa_exception_fp_ieee_div_zero 0
		.amdhsa_exception_fp_ieee_overflow 0
		.amdhsa_exception_fp_ieee_underflow 0
		.amdhsa_exception_fp_ieee_inexact 0
		.amdhsa_exception_int_div_zero 0
	.end_amdhsa_kernel
	.text
.Lfunc_end0:
	.size	bluestein_single_fwd_len243_dim1_dp_op_CI_CI, .Lfunc_end0-bluestein_single_fwd_len243_dim1_dp_op_CI_CI
                                        ; -- End function
	.section	.AMDGPU.csdata,"",@progbits
; Kernel info:
; codeLenInByte = 3876
; NumSgprs: 22
; NumVgprs: 77
; ScratchSize: 0
; MemoryBound: 0
; FloatMode: 240
; IeeeMode: 1
; LDSByteSize: 11664 bytes/workgroup (compile time only)
; SGPRBlocks: 2
; VGPRBlocks: 9
; NumSGPRsForWavesPerEU: 22
; NumVGPRsForWavesPerEU: 77
; Occupancy: 12
; WaveLimiterHint : 1
; COMPUTE_PGM_RSRC2:SCRATCH_EN: 0
; COMPUTE_PGM_RSRC2:USER_SGPR: 6
; COMPUTE_PGM_RSRC2:TRAP_HANDLER: 0
; COMPUTE_PGM_RSRC2:TGID_X_EN: 1
; COMPUTE_PGM_RSRC2:TGID_Y_EN: 0
; COMPUTE_PGM_RSRC2:TGID_Z_EN: 0
; COMPUTE_PGM_RSRC2:TIDIG_COMP_CNT: 0
	.text
	.p2alignl 6, 3214868480
	.fill 48, 4, 3214868480
	.type	__hip_cuid_a575a9b98e728e5a,@object ; @__hip_cuid_a575a9b98e728e5a
	.section	.bss,"aw",@nobits
	.globl	__hip_cuid_a575a9b98e728e5a
__hip_cuid_a575a9b98e728e5a:
	.byte	0                               ; 0x0
	.size	__hip_cuid_a575a9b98e728e5a, 1

	.ident	"AMD clang version 19.0.0git (https://github.com/RadeonOpenCompute/llvm-project roc-6.4.0 25133 c7fe45cf4b819c5991fe208aaa96edf142730f1d)"
	.section	".note.GNU-stack","",@progbits
	.addrsig
	.addrsig_sym __hip_cuid_a575a9b98e728e5a
	.amdgpu_metadata
---
amdhsa.kernels:
  - .args:
      - .actual_access:  read_only
        .address_space:  global
        .offset:         0
        .size:           8
        .value_kind:     global_buffer
      - .actual_access:  read_only
        .address_space:  global
        .offset:         8
        .size:           8
        .value_kind:     global_buffer
      - .actual_access:  read_only
        .address_space:  global
        .offset:         16
        .size:           8
        .value_kind:     global_buffer
      - .actual_access:  read_only
        .address_space:  global
        .offset:         24
        .size:           8
        .value_kind:     global_buffer
      - .actual_access:  read_only
        .address_space:  global
        .offset:         32
        .size:           8
        .value_kind:     global_buffer
      - .offset:         40
        .size:           8
        .value_kind:     by_value
      - .address_space:  global
        .offset:         48
        .size:           8
        .value_kind:     global_buffer
      - .address_space:  global
        .offset:         56
        .size:           8
        .value_kind:     global_buffer
      - .address_space:  global
        .offset:         64
        .size:           8
        .value_kind:     global_buffer
      - .address_space:  global
        .offset:         72
        .size:           8
        .value_kind:     global_buffer
      - .offset:         80
        .size:           4
        .value_kind:     by_value
      - .address_space:  global
        .offset:         88
        .size:           8
        .value_kind:     global_buffer
      - .address_space:  global
        .offset:         96
        .size:           8
        .value_kind:     global_buffer
    .group_segment_fixed_size: 11664
    .kernarg_segment_align: 8
    .kernarg_segment_size: 104
    .language:       OpenCL C
    .language_version:
      - 2
      - 0
    .max_flat_workgroup_size: 243
    .name:           bluestein_single_fwd_len243_dim1_dp_op_CI_CI
    .private_segment_fixed_size: 0
    .sgpr_count:     22
    .sgpr_spill_count: 0
    .symbol:         bluestein_single_fwd_len243_dim1_dp_op_CI_CI.kd
    .uniform_work_group_size: 1
    .uses_dynamic_stack: false
    .vgpr_count:     77
    .vgpr_spill_count: 0
    .wavefront_size: 32
    .workgroup_processor_mode: 1
amdhsa.target:   amdgcn-amd-amdhsa--gfx1030
amdhsa.version:
  - 1
  - 2
...

	.end_amdgpu_metadata
